;; amdgpu-corpus repo=ROCm/rocFFT kind=compiled arch=gfx1030 opt=O3
	.text
	.amdgcn_target "amdgcn-amd-amdhsa--gfx1030"
	.amdhsa_code_object_version 6
	.protected	fft_rtc_back_len468_factors_13_9_4_wgs_52_tpt_52_dp_op_CI_CI_unitstride_sbrr_R2C_dirReg ; -- Begin function fft_rtc_back_len468_factors_13_9_4_wgs_52_tpt_52_dp_op_CI_CI_unitstride_sbrr_R2C_dirReg
	.globl	fft_rtc_back_len468_factors_13_9_4_wgs_52_tpt_52_dp_op_CI_CI_unitstride_sbrr_R2C_dirReg
	.p2align	8
	.type	fft_rtc_back_len468_factors_13_9_4_wgs_52_tpt_52_dp_op_CI_CI_unitstride_sbrr_R2C_dirReg,@function
fft_rtc_back_len468_factors_13_9_4_wgs_52_tpt_52_dp_op_CI_CI_unitstride_sbrr_R2C_dirReg: ; @fft_rtc_back_len468_factors_13_9_4_wgs_52_tpt_52_dp_op_CI_CI_unitstride_sbrr_R2C_dirReg
; %bb.0:
	s_clause 0x2
	s_load_dwordx4 s[12:15], s[4:5], 0x0
	s_load_dwordx4 s[8:11], s[4:5], 0x58
	;; [unrolled: 1-line block ×3, first 2 shown]
	v_mul_u32_u24_e32 v1, 0x4ed, v0
	v_mov_b32_e32 v3, 0
	v_add_nc_u32_sdwa v5, s6, v1 dst_sel:DWORD dst_unused:UNUSED_PAD src0_sel:DWORD src1_sel:WORD_1
	v_mov_b32_e32 v1, 0
	v_mov_b32_e32 v6, v3
	v_mov_b32_e32 v2, 0
	s_waitcnt lgkmcnt(0)
	v_cmp_lt_u64_e64 s0, s[14:15], 2
	s_and_b32 vcc_lo, exec_lo, s0
	s_cbranch_vccnz .LBB0_8
; %bb.1:
	s_load_dwordx2 s[0:1], s[4:5], 0x10
	v_mov_b32_e32 v1, 0
	v_mov_b32_e32 v2, 0
	s_add_u32 s2, s18, 8
	s_addc_u32 s3, s19, 0
	s_add_u32 s6, s16, 8
	s_addc_u32 s7, s17, 0
	v_mov_b32_e32 v65, v2
	v_mov_b32_e32 v64, v1
	s_mov_b64 s[22:23], 1
	s_waitcnt lgkmcnt(0)
	s_add_u32 s20, s0, 8
	s_addc_u32 s21, s1, 0
.LBB0_2:                                ; =>This Inner Loop Header: Depth=1
	s_load_dwordx2 s[24:25], s[20:21], 0x0
                                        ; implicit-def: $vgpr68_vgpr69
	s_mov_b32 s0, exec_lo
	s_waitcnt lgkmcnt(0)
	v_or_b32_e32 v4, s25, v6
	v_cmpx_ne_u64_e32 0, v[3:4]
	s_xor_b32 s1, exec_lo, s0
	s_cbranch_execz .LBB0_4
; %bb.3:                                ;   in Loop: Header=BB0_2 Depth=1
	v_cvt_f32_u32_e32 v4, s24
	v_cvt_f32_u32_e32 v7, s25
	s_sub_u32 s0, 0, s24
	s_subb_u32 s26, 0, s25
	v_fmac_f32_e32 v4, 0x4f800000, v7
	v_rcp_f32_e32 v4, v4
	v_mul_f32_e32 v4, 0x5f7ffffc, v4
	v_mul_f32_e32 v7, 0x2f800000, v4
	v_trunc_f32_e32 v7, v7
	v_fmac_f32_e32 v4, 0xcf800000, v7
	v_cvt_u32_f32_e32 v7, v7
	v_cvt_u32_f32_e32 v4, v4
	v_mul_lo_u32 v8, s0, v7
	v_mul_hi_u32 v9, s0, v4
	v_mul_lo_u32 v10, s26, v4
	v_add_nc_u32_e32 v8, v9, v8
	v_mul_lo_u32 v9, s0, v4
	v_add_nc_u32_e32 v8, v8, v10
	v_mul_hi_u32 v10, v4, v9
	v_mul_lo_u32 v11, v4, v8
	v_mul_hi_u32 v12, v4, v8
	v_mul_hi_u32 v13, v7, v9
	v_mul_lo_u32 v9, v7, v9
	v_mul_hi_u32 v14, v7, v8
	v_mul_lo_u32 v8, v7, v8
	v_add_co_u32 v10, vcc_lo, v10, v11
	v_add_co_ci_u32_e32 v11, vcc_lo, 0, v12, vcc_lo
	v_add_co_u32 v9, vcc_lo, v10, v9
	v_add_co_ci_u32_e32 v9, vcc_lo, v11, v13, vcc_lo
	v_add_co_ci_u32_e32 v10, vcc_lo, 0, v14, vcc_lo
	v_add_co_u32 v8, vcc_lo, v9, v8
	v_add_co_ci_u32_e32 v9, vcc_lo, 0, v10, vcc_lo
	v_add_co_u32 v4, vcc_lo, v4, v8
	v_add_co_ci_u32_e32 v7, vcc_lo, v7, v9, vcc_lo
	v_mul_hi_u32 v8, s0, v4
	v_mul_lo_u32 v10, s26, v4
	v_mul_lo_u32 v9, s0, v7
	v_add_nc_u32_e32 v8, v8, v9
	v_mul_lo_u32 v9, s0, v4
	v_add_nc_u32_e32 v8, v8, v10
	v_mul_hi_u32 v10, v4, v9
	v_mul_lo_u32 v11, v4, v8
	v_mul_hi_u32 v12, v4, v8
	v_mul_hi_u32 v13, v7, v9
	v_mul_lo_u32 v9, v7, v9
	v_mul_hi_u32 v14, v7, v8
	v_mul_lo_u32 v8, v7, v8
	v_add_co_u32 v10, vcc_lo, v10, v11
	v_add_co_ci_u32_e32 v11, vcc_lo, 0, v12, vcc_lo
	v_add_co_u32 v9, vcc_lo, v10, v9
	v_add_co_ci_u32_e32 v9, vcc_lo, v11, v13, vcc_lo
	v_add_co_ci_u32_e32 v10, vcc_lo, 0, v14, vcc_lo
	v_add_co_u32 v8, vcc_lo, v9, v8
	v_add_co_ci_u32_e32 v9, vcc_lo, 0, v10, vcc_lo
	v_add_co_u32 v4, vcc_lo, v4, v8
	v_add_co_ci_u32_e32 v11, vcc_lo, v7, v9, vcc_lo
	v_mul_hi_u32 v13, v5, v4
	v_mad_u64_u32 v[9:10], null, v6, v4, 0
	v_mad_u64_u32 v[7:8], null, v5, v11, 0
	;; [unrolled: 1-line block ×3, first 2 shown]
	v_add_co_u32 v4, vcc_lo, v13, v7
	v_add_co_ci_u32_e32 v7, vcc_lo, 0, v8, vcc_lo
	v_add_co_u32 v4, vcc_lo, v4, v9
	v_add_co_ci_u32_e32 v4, vcc_lo, v7, v10, vcc_lo
	v_add_co_ci_u32_e32 v7, vcc_lo, 0, v12, vcc_lo
	v_add_co_u32 v4, vcc_lo, v4, v11
	v_add_co_ci_u32_e32 v9, vcc_lo, 0, v7, vcc_lo
	v_mul_lo_u32 v10, s25, v4
	v_mad_u64_u32 v[7:8], null, s24, v4, 0
	v_mul_lo_u32 v11, s24, v9
	v_sub_co_u32 v7, vcc_lo, v5, v7
	v_add3_u32 v8, v8, v11, v10
	v_sub_nc_u32_e32 v10, v6, v8
	v_subrev_co_ci_u32_e64 v10, s0, s25, v10, vcc_lo
	v_add_co_u32 v11, s0, v4, 2
	v_add_co_ci_u32_e64 v12, s0, 0, v9, s0
	v_sub_co_u32 v13, s0, v7, s24
	v_sub_co_ci_u32_e32 v8, vcc_lo, v6, v8, vcc_lo
	v_subrev_co_ci_u32_e64 v10, s0, 0, v10, s0
	v_cmp_le_u32_e32 vcc_lo, s24, v13
	v_cmp_eq_u32_e64 s0, s25, v8
	v_cndmask_b32_e64 v13, 0, -1, vcc_lo
	v_cmp_le_u32_e32 vcc_lo, s25, v10
	v_cndmask_b32_e64 v14, 0, -1, vcc_lo
	v_cmp_le_u32_e32 vcc_lo, s24, v7
	;; [unrolled: 2-line block ×3, first 2 shown]
	v_cndmask_b32_e64 v15, 0, -1, vcc_lo
	v_cmp_eq_u32_e32 vcc_lo, s25, v10
	v_cndmask_b32_e64 v7, v15, v7, s0
	v_cndmask_b32_e32 v10, v14, v13, vcc_lo
	v_add_co_u32 v13, vcc_lo, v4, 1
	v_add_co_ci_u32_e32 v14, vcc_lo, 0, v9, vcc_lo
	v_cmp_ne_u32_e32 vcc_lo, 0, v10
	v_cndmask_b32_e32 v8, v14, v12, vcc_lo
	v_cndmask_b32_e32 v10, v13, v11, vcc_lo
	v_cmp_ne_u32_e32 vcc_lo, 0, v7
	v_cndmask_b32_e32 v69, v9, v8, vcc_lo
	v_cndmask_b32_e32 v68, v4, v10, vcc_lo
.LBB0_4:                                ;   in Loop: Header=BB0_2 Depth=1
	s_andn2_saveexec_b32 s0, s1
	s_cbranch_execz .LBB0_6
; %bb.5:                                ;   in Loop: Header=BB0_2 Depth=1
	v_cvt_f32_u32_e32 v4, s24
	s_sub_i32 s1, 0, s24
	v_mov_b32_e32 v69, v3
	v_rcp_iflag_f32_e32 v4, v4
	v_mul_f32_e32 v4, 0x4f7ffffe, v4
	v_cvt_u32_f32_e32 v4, v4
	v_mul_lo_u32 v7, s1, v4
	v_mul_hi_u32 v7, v4, v7
	v_add_nc_u32_e32 v4, v4, v7
	v_mul_hi_u32 v4, v5, v4
	v_mul_lo_u32 v7, v4, s24
	v_add_nc_u32_e32 v8, 1, v4
	v_sub_nc_u32_e32 v7, v5, v7
	v_subrev_nc_u32_e32 v9, s24, v7
	v_cmp_le_u32_e32 vcc_lo, s24, v7
	v_cndmask_b32_e32 v7, v7, v9, vcc_lo
	v_cndmask_b32_e32 v4, v4, v8, vcc_lo
	v_cmp_le_u32_e32 vcc_lo, s24, v7
	v_add_nc_u32_e32 v8, 1, v4
	v_cndmask_b32_e32 v68, v4, v8, vcc_lo
.LBB0_6:                                ;   in Loop: Header=BB0_2 Depth=1
	s_or_b32 exec_lo, exec_lo, s0
	v_mul_lo_u32 v4, v69, s24
	v_mul_lo_u32 v9, v68, s25
	s_load_dwordx2 s[0:1], s[6:7], 0x0
	v_mad_u64_u32 v[7:8], null, v68, s24, 0
	s_load_dwordx2 s[24:25], s[2:3], 0x0
	s_add_u32 s22, s22, 1
	s_addc_u32 s23, s23, 0
	s_add_u32 s2, s2, 8
	s_addc_u32 s3, s3, 0
	s_add_u32 s6, s6, 8
	v_add3_u32 v4, v8, v9, v4
	v_sub_co_u32 v5, vcc_lo, v5, v7
	s_addc_u32 s7, s7, 0
	s_add_u32 s20, s20, 8
	v_sub_co_ci_u32_e32 v4, vcc_lo, v6, v4, vcc_lo
	s_addc_u32 s21, s21, 0
	s_waitcnt lgkmcnt(0)
	v_mul_lo_u32 v6, s0, v4
	v_mul_lo_u32 v7, s1, v5
	v_mad_u64_u32 v[1:2], null, s0, v5, v[1:2]
	v_mul_lo_u32 v4, s24, v4
	v_mul_lo_u32 v8, s25, v5
	v_mad_u64_u32 v[64:65], null, s24, v5, v[64:65]
	v_cmp_ge_u64_e64 s0, s[22:23], s[14:15]
	v_add3_u32 v2, v7, v2, v6
	v_add3_u32 v65, v8, v65, v4
	s_and_b32 vcc_lo, exec_lo, s0
	s_cbranch_vccnz .LBB0_9
; %bb.7:                                ;   in Loop: Header=BB0_2 Depth=1
	v_mov_b32_e32 v5, v68
	v_mov_b32_e32 v6, v69
	s_branch .LBB0_2
.LBB0_8:
	v_mov_b32_e32 v65, v2
	v_mov_b32_e32 v69, v6
	;; [unrolled: 1-line block ×4, first 2 shown]
.LBB0_9:
	s_load_dwordx2 s[0:1], s[4:5], 0x28
	v_mul_hi_u32 v3, 0x4ec4ec5, v0
	s_lshl_b64 s[4:5], s[14:15], 3
                                        ; implicit-def: $vgpr66
	s_add_u32 s2, s18, s4
	s_addc_u32 s3, s19, s5
	s_waitcnt lgkmcnt(0)
	v_cmp_gt_u64_e32 vcc_lo, s[0:1], v[68:69]
	v_cmp_le_u64_e64 s0, s[0:1], v[68:69]
	s_and_saveexec_b32 s1, s0
	s_xor_b32 s0, exec_lo, s1
; %bb.10:
	v_mul_u32_u24_e32 v1, 52, v3
                                        ; implicit-def: $vgpr3
	v_sub_nc_u32_e32 v66, v0, v1
                                        ; implicit-def: $vgpr0
                                        ; implicit-def: $vgpr1_vgpr2
; %bb.11:
	s_andn2_saveexec_b32 s1, s0
	s_cbranch_execz .LBB0_13
; %bb.12:
	s_add_u32 s4, s16, s4
	s_addc_u32 s5, s17, s5
	v_lshlrev_b64 v[1:2], 4, v[1:2]
	s_load_dwordx2 s[4:5], s[4:5], 0x0
	s_waitcnt lgkmcnt(0)
	v_mul_lo_u32 v6, s5, v68
	v_mul_lo_u32 v7, s4, v69
	v_mad_u64_u32 v[4:5], null, s4, v68, 0
	v_add3_u32 v5, v5, v7, v6
	v_mul_u32_u24_e32 v6, 52, v3
	v_lshlrev_b64 v[3:4], 4, v[4:5]
	v_sub_nc_u32_e32 v66, v0, v6
	v_lshlrev_b32_e32 v36, 4, v66
	v_add_co_u32 v0, s0, s8, v3
	v_add_co_ci_u32_e64 v3, s0, s9, v4, s0
	v_add_co_u32 v0, s0, v0, v1
	v_add_co_ci_u32_e64 v1, s0, v3, v2, s0
	;; [unrolled: 2-line block ×3, first 2 shown]
	s_clause 0x1
	global_load_dwordx4 v[0:3], v[8:9], off
	global_load_dwordx4 v[4:7], v[8:9], off offset:832
	v_add_co_u32 v16, s0, 0x800, v8
	v_add_co_ci_u32_e64 v17, s0, 0, v9, s0
	v_add_co_u32 v28, s0, 0x1000, v8
	v_add_co_ci_u32_e64 v29, s0, 0, v9, s0
	;; [unrolled: 2-line block ×3, first 2 shown]
	s_clause 0x6
	global_load_dwordx4 v[8:11], v[8:9], off offset:1664
	global_load_dwordx4 v[12:15], v[16:17], off offset:448
	;; [unrolled: 1-line block ×7, first 2 shown]
	v_add_nc_u32_e32 v36, 0, v36
	s_waitcnt vmcnt(8)
	ds_write_b128 v36, v[0:3]
	s_waitcnt vmcnt(7)
	ds_write_b128 v36, v[4:7] offset:832
	s_waitcnt vmcnt(6)
	ds_write_b128 v36, v[8:11] offset:1664
	s_waitcnt vmcnt(5)
	ds_write_b128 v36, v[12:15] offset:2496
	s_waitcnt vmcnt(4)
	ds_write_b128 v36, v[16:19] offset:3328
	s_waitcnt vmcnt(3)
	ds_write_b128 v36, v[20:23] offset:4160
	s_waitcnt vmcnt(2)
	ds_write_b128 v36, v[24:27] offset:4992
	s_waitcnt vmcnt(1)
	ds_write_b128 v36, v[28:31] offset:5824
	s_waitcnt vmcnt(0)
	ds_write_b128 v36, v[32:35] offset:6656
.LBB0_13:
	s_or_b32 exec_lo, exec_lo, s1
	v_lshl_add_u32 v190, v66, 4, 0
	s_waitcnt lgkmcnt(0)
	s_barrier
	buffer_gl0_inv
	s_mov_b32 s6, 0x1ea71119
	ds_read_b128 v[12:15], v190 offset:6912
	ds_read_b128 v[20:23], v190 offset:576
	;; [unrolled: 1-line block ×4, first 2 shown]
	ds_read_b128 v[24:27], v190
	s_mov_b32 s8, 0x42a4c3d2
	s_mov_b32 s4, 0xb2365da1
	;; [unrolled: 1-line block ×11, first 2 shown]
	ds_read_b128 v[52:55], v190 offset:1728
	ds_read_b128 v[28:31], v190 offset:5760
	s_mov_b32 s16, 0x93053d00
	s_mov_b32 s22, 0x4bc48dbf
	;; [unrolled: 1-line block ×6, first 2 shown]
	s_waitcnt lgkmcnt(5)
	v_add_f64 v[72:73], v[22:23], -v[14:15]
	v_add_f64 v[70:71], v[22:23], v[14:15]
	s_waitcnt lgkmcnt(3)
	v_add_f64 v[96:97], v[38:39], -v[18:19]
	v_add_f64 v[74:75], v[38:39], v[18:19]
	v_add_f64 v[90:91], v[20:21], v[12:13]
	v_add_f64 v[160:161], v[20:21], -v[12:13]
	s_mov_b32 s21, 0xbfe7f3cc
	s_mov_b32 s35, 0x3fe5384d
	v_add_f64 v[94:95], v[36:37], v[16:17]
	v_add_f64 v[174:175], v[36:37], -v[16:17]
	ds_read_b128 v[60:63], v190 offset:2304
	ds_read_b128 v[56:59], v190 offset:2880
	;; [unrolled: 1-line block ×4, first 2 shown]
	s_mov_b32 s26, 0xe00740e9
	s_mov_b32 s39, 0x3fedeba7
	s_waitcnt lgkmcnt(4)
	v_add_f64 v[108:109], v[54:55], -v[30:31]
	v_add_f64 v[82:83], v[54:55], v[30:31]
	s_mov_b32 s27, 0x3fec55a7
	s_mov_b32 s31, 0x3fddbe06
	;; [unrolled: 1-line block ×4, first 2 shown]
	v_add_f64 v[84:85], v[52:53], v[28:29]
	v_add_f64 v[164:165], v[52:53], -v[28:29]
	ds_read_b128 v[48:51], v190 offset:3456
	ds_read_b128 v[44:47], v190 offset:4032
	v_mul_f64 v[100:101], v[72:73], s[8:9]
	v_mul_f64 v[128:129], v[70:71], s[6:7]
	;; [unrolled: 1-line block ×12, first 2 shown]
	s_waitcnt lgkmcnt(3)
	v_add_f64 v[102:103], v[62:63], -v[34:35]
	v_add_f64 v[76:77], v[62:63], v[34:35]
	v_mul_f64 v[112:113], v[108:109], s[22:23]
	v_mul_f64 v[120:121], v[82:83], s[16:17]
	;; [unrolled: 1-line block ×6, first 2 shown]
	v_add_f64 v[86:87], v[60:61], v[32:33]
	v_add_f64 v[166:167], v[60:61], -v[32:33]
	v_fma_f64 v[0:1], v[90:91], s[6:7], -v[100:101]
	v_fma_f64 v[2:3], v[160:161], s[8:9], v[128:129]
	v_fma_f64 v[4:5], v[90:91], s[14:15], -v[98:99]
	v_fma_f64 v[6:7], v[160:161], s[18:19], v[172:173]
	;; [unrolled: 2-line block ×6, first 2 shown]
	s_waitcnt lgkmcnt(2)
	v_add_f64 v[104:105], v[58:59], -v[42:43]
	v_add_f64 v[78:79], v[58:59], v[42:43]
	v_mul_f64 v[114:115], v[102:103], s[34:35]
	v_mul_f64 v[122:123], v[76:77], s[20:21]
	v_mul_f64 v[136:137], v[102:103], s[30:31]
	v_mul_f64 v[146:147], v[76:77], s[26:27]
	v_mul_f64 v[154:155], v[102:103], s[18:19]
	v_fma_f64 v[118:119], v[84:85], s[16:17], -v[112:113]
	v_fma_f64 v[126:127], v[164:165], s[22:23], v[120:121]
	v_fma_f64 v[142:143], v[84:85], s[4:5], -v[134:135]
	v_add_f64 v[0:1], v[24:25], v[0:1]
	v_add_f64 v[2:3], v[26:27], v[2:3]
	;; [unrolled: 1-line block ×6, first 2 shown]
	v_fma_f64 v[150:151], v[84:85], s[26:27], -v[152:153]
	v_mul_f64 v[182:183], v[76:77], s[14:15]
	s_mov_b32 s37, 0x3fefc445
	s_mov_b32 s43, 0x3fcea1e5
	;; [unrolled: 1-line block ×4, first 2 shown]
	v_add_f64 v[168:169], v[56:57], -v[40:41]
	v_mul_f64 v[124:125], v[78:79], s[14:15]
	v_mul_f64 v[138:139], v[104:105], s[8:9]
	;; [unrolled: 1-line block ×4, first 2 shown]
	v_fma_f64 v[176:177], v[86:87], s[20:21], -v[114:115]
	v_fma_f64 v[191:192], v[166:167], s[34:35], v[122:123]
	v_fma_f64 v[193:194], v[86:87], s[26:27], -v[136:137]
	v_fma_f64 v[195:196], v[166:167], s[30:31], v[146:147]
	v_fma_f64 v[197:198], v[86:87], s[14:15], -v[154:155]
	v_add_f64 v[0:1], v[80:81], v[0:1]
	v_add_f64 v[2:3], v[88:89], v[2:3]
	;; [unrolled: 1-line block ×3, first 2 shown]
	v_fma_f64 v[92:93], v[164:165], s[38:39], v[144:145]
	v_add_f64 v[6:7], v[106:107], v[6:7]
	v_add_f64 v[8:9], v[110:111], v[8:9]
	v_fma_f64 v[110:111], v[164:165], s[30:31], v[188:189]
	v_add_f64 v[10:11], v[116:117], v[10:11]
	v_add_f64 v[88:89], v[56:57], v[40:41]
	s_waitcnt lgkmcnt(0)
	v_add_f64 v[106:107], v[50:51], -v[46:47]
	v_add_f64 v[80:81], v[50:51], v[46:47]
	v_mul_f64 v[116:117], v[104:105], s[36:37]
	v_mul_f64 v[180:181], v[78:79], s[16:17]
	v_fma_f64 v[199:200], v[166:167], s[18:19], v[182:183]
	s_mov_b32 s29, 0xbfe5384d
	s_mov_b32 s41, 0x3fea55e2
	;; [unrolled: 1-line block ×4, first 2 shown]
	v_add_f64 v[170:171], v[48:49], -v[44:45]
	v_fma_f64 v[203:204], v[168:169], s[36:37], v[124:125]
	s_mov_b32 s1, exec_lo
	v_add_f64 v[0:1], v[118:119], v[0:1]
	v_add_f64 v[2:3], v[126:127], v[2:3]
	;; [unrolled: 1-line block ×3, first 2 shown]
	s_barrier
	v_add_f64 v[6:7], v[92:93], v[6:7]
	v_add_f64 v[8:9], v[150:151], v[8:9]
	;; [unrolled: 1-line block ×4, first 2 shown]
	v_fma_f64 v[205:206], v[88:89], s[6:7], -v[138:139]
	v_mul_f64 v[110:111], v[106:107], s[30:31]
	v_mul_f64 v[118:119], v[80:81], s[26:27]
	;; [unrolled: 1-line block ×5, first 2 shown]
	v_fma_f64 v[201:202], v[88:89], s[14:15], -v[116:117]
	buffer_gl0_inv
	v_add_f64 v[0:1], v[176:177], v[0:1]
	v_add_f64 v[2:3], v[191:192], v[2:3]
	;; [unrolled: 1-line block ×3, first 2 shown]
	v_mul_f64 v[176:177], v[80:81], s[6:7]
	v_fma_f64 v[191:192], v[168:169], s[8:9], v[148:149]
	v_add_f64 v[6:7], v[195:196], v[6:7]
	v_add_f64 v[8:9], v[197:198], v[8:9]
	v_fma_f64 v[193:194], v[88:89], s[16:17], -v[156:157]
	v_fma_f64 v[195:196], v[168:169], s[42:43], v[180:181]
	v_add_f64 v[10:11], v[199:200], v[10:11]
	v_fma_f64 v[197:198], v[92:93], s[26:27], -v[110:111]
	v_fma_f64 v[199:200], v[170:171], s[30:31], v[118:119]
	v_fma_f64 v[207:208], v[92:93], s[20:21], -v[126:127]
	v_fma_f64 v[209:210], v[170:171], s[28:29], v[142:143]
	v_fma_f64 v[211:212], v[92:93], s[6:7], -v[150:151]
	v_add_f64 v[0:1], v[201:202], v[0:1]
	v_add_f64 v[2:3], v[203:204], v[2:3]
	;; [unrolled: 1-line block ×3, first 2 shown]
	v_fma_f64 v[213:214], v[170:171], s[40:41], v[176:177]
	v_add_f64 v[6:7], v[191:192], v[6:7]
	v_add_f64 v[191:192], v[193:194], v[8:9]
	;; [unrolled: 1-line block ×9, first 2 shown]
	v_cmpx_gt_u32_e32 36, v66
	s_cbranch_execz .LBB0_15
; %bb.14:
	v_add_f64 v[22:23], v[26:27], v[22:23]
	v_add_f64 v[20:21], v[24:25], v[20:21]
	v_mul_f64 v[191:192], v[160:161], s[22:23]
	v_mul_f64 v[193:194], v[72:73], s[22:23]
	;; [unrolled: 1-line block ×20, first 2 shown]
	v_add_f64 v[22:23], v[22:23], v[38:39]
	v_add_f64 v[20:21], v[20:21], v[36:37]
	v_fma_f64 v[213:214], v[70:71], s[16:17], v[191:192]
	v_fma_f64 v[217:218], v[90:91], s[16:17], -v[193:194]
	v_fma_f64 v[241:242], v[70:71], s[20:21], -v[209:210]
	v_fma_f64 v[209:210], v[70:71], s[20:21], v[209:210]
	v_fma_f64 v[253:254], v[90:91], s[20:21], -v[231:232]
	v_fma_f64 v[239:240], v[74:75], s[26:27], v[207:208]
	v_fma_f64 v[243:244], v[94:95], s[26:27], -v[215:216]
	v_fma_f64 v[231:232], v[90:91], s[20:21], v[231:232]
	v_add_f64 v[184:185], v[184:185], -v[205:206]
	v_fma_f64 v[205:206], v[74:75], s[14:15], v[237:238]
	v_fma_f64 v[237:238], v[74:75], s[14:15], -v[237:238]
	v_add_f64 v[186:187], v[186:187], -v[227:228]
	v_add_f64 v[188:189], v[188:189], -v[249:250]
	v_fma_f64 v[191:192], v[70:71], s[16:17], -v[191:192]
	v_fma_f64 v[193:194], v[90:91], s[16:17], v[193:194]
	v_fma_f64 v[207:208], v[74:75], s[26:27], -v[207:208]
	v_fma_f64 v[215:216], v[94:95], s[26:27], v[215:216]
	v_add_f64 v[128:129], v[128:129], -v[197:198]
	v_mul_f64 v[174:175], v[174:175], s[8:9]
	v_add_f64 v[100:101], v[195:196], v[100:101]
	v_add_f64 v[22:23], v[22:23], v[54:55]
	;; [unrolled: 1-line block ×3, first 2 shown]
	v_mul_f64 v[54:55], v[96:97], s[36:37]
	v_add_f64 v[213:214], v[26:27], v[213:214]
	v_add_f64 v[217:218], v[24:25], v[217:218]
	;; [unrolled: 1-line block ×5, first 2 shown]
	v_mul_f64 v[52:53], v[166:167], s[40:41]
	v_add_f64 v[227:228], v[24:25], v[231:232]
	v_mul_f64 v[231:232], v[166:167], s[42:43]
	v_add_f64 v[184:185], v[26:27], v[184:185]
	v_mul_f64 v[211:212], v[94:95], s[4:5]
	v_mul_f64 v[221:222], v[94:95], s[16:17]
	v_add_f64 v[172:173], v[172:173], -v[201:202]
	v_add_f64 v[191:192], v[26:27], v[191:192]
	v_add_f64 v[193:194], v[24:25], v[193:194]
	;; [unrolled: 1-line block ×3, first 2 shown]
	v_mul_f64 v[225:226], v[94:95], s[20:21]
	v_add_f64 v[162:163], v[203:204], v[162:163]
	v_mul_f64 v[38:39], v[164:165], s[22:23]
	v_mul_f64 v[245:246], v[164:165], s[38:39]
	v_add_f64 v[22:23], v[22:23], v[62:63]
	v_add_f64 v[20:21], v[20:21], v[60:61]
	v_mul_f64 v[60:61], v[108:109], s[8:9]
	v_fma_f64 v[62:63], v[94:95], s[14:15], -v[54:55]
	v_add_f64 v[213:214], v[239:240], v[213:214]
	v_add_f64 v[217:218], v[243:244], v[217:218]
	v_fma_f64 v[243:244], v[82:83], s[20:21], v[233:234]
	v_add_f64 v[237:238], v[237:238], v[241:242]
	v_fma_f64 v[241:242], v[82:83], s[6:7], -v[251:252]
	v_add_f64 v[205:206], v[205:206], v[209:210]
	v_fma_f64 v[251:252], v[82:83], s[6:7], v[251:252]
	v_fma_f64 v[54:55], v[94:95], s[14:15], v[54:55]
	v_add_f64 v[184:185], v[186:187], v[184:185]
	v_fma_f64 v[186:187], v[76:77], s[16:17], -v[231:232]
	v_fma_f64 v[231:232], v[76:77], s[16:17], v[231:232]
	v_mul_f64 v[239:240], v[102:103], s[40:41]
	v_add_f64 v[191:192], v[207:208], v[191:192]
	v_fma_f64 v[207:208], v[84:85], s[20:21], -v[235:236]
	v_add_f64 v[193:194], v[215:216], v[193:194]
	v_fma_f64 v[233:234], v[82:83], s[20:21], -v[233:234]
	v_fma_f64 v[235:236], v[84:85], s[20:21], v[235:236]
	v_add_f64 v[128:129], v[26:27], v[128:129]
	v_add_f64 v[22:23], v[22:23], v[58:59]
	;; [unrolled: 1-line block ×3, first 2 shown]
	v_fma_f64 v[249:250], v[84:85], s[6:7], -v[60:61]
	v_add_f64 v[62:63], v[62:63], v[253:254]
	v_mul_f64 v[253:254], v[102:103], s[42:43]
	v_mul_f64 v[108:109], v[108:109], s[18:19]
	v_add_f64 v[213:214], v[243:244], v[213:214]
	v_fma_f64 v[243:244], v[76:77], s[6:7], v[52:53]
	v_mul_f64 v[36:37], v[84:85], s[16:17]
	v_add_f64 v[130:131], v[211:212], v[130:131]
	v_add_f64 v[205:206], v[251:252], v[205:206]
	;; [unrolled: 1-line block ×3, first 2 shown]
	v_mul_f64 v[227:228], v[168:169], s[30:31]
	v_mul_f64 v[229:230], v[84:85], s[4:5]
	v_add_f64 v[158:159], v[158:159], -v[223:224]
	v_add_f64 v[172:173], v[26:27], v[172:173]
	v_add_f64 v[140:141], v[221:222], v[140:141]
	;; [unrolled: 1-line block ×3, first 2 shown]
	v_mul_f64 v[247:248], v[84:85], s[26:27]
	v_mul_f64 v[215:216], v[168:169], s[24:25]
	v_add_f64 v[207:208], v[207:208], v[217:218]
	v_fma_f64 v[217:218], v[86:87], s[6:7], -v[239:240]
	v_add_f64 v[22:23], v[22:23], v[50:51]
	v_add_f64 v[20:21], v[20:21], v[48:49]
	v_mul_f64 v[50:51], v[96:97], s[8:9]
	v_add_f64 v[62:63], v[249:250], v[62:63]
	v_fma_f64 v[249:250], v[86:87], s[16:17], -v[253:254]
	v_add_f64 v[191:192], v[233:234], v[191:192]
	v_fma_f64 v[233:234], v[86:87], s[6:7], v[239:240]
	v_add_f64 v[213:214], v[243:244], v[213:214]
	v_mul_f64 v[243:244], v[166:167], s[30:31]
	v_add_f64 v[193:194], v[235:236], v[193:194]
	v_add_f64 v[205:206], v[231:232], v[205:206]
	v_mul_f64 v[231:232], v[170:171], s[30:31]
	v_add_f64 v[178:179], v[225:226], v[178:179]
	v_mul_f64 v[239:240], v[166:167], s[34:35]
	v_mul_f64 v[251:252], v[166:167], s[18:19]
	v_add_f64 v[38:39], v[120:121], -v[38:39]
	v_mul_f64 v[209:210], v[104:105], s[24:25]
	v_fma_f64 v[52:53], v[76:77], s[6:7], -v[52:53]
	v_mul_f64 v[235:236], v[86:87], s[20:21]
	v_add_f64 v[237:238], v[241:242], v[237:238]
	v_add_f64 v[36:37], v[36:37], v[112:113]
	v_mul_f64 v[241:242], v[86:87], s[26:27]
	v_add_f64 v[22:23], v[22:23], v[46:47]
	v_add_f64 v[20:21], v[20:21], v[44:45]
	;; [unrolled: 1-line block ×5, first 2 shown]
	v_mul_f64 v[249:250], v[104:105], s[30:31]
	s_mov_b32 s31, 0xbfddbe06
	v_fma_f64 v[60:61], v[84:85], s[6:7], v[60:61]
	v_mul_f64 v[160:161], v[160:161], s[30:31]
	v_mul_f64 v[72:73], v[72:73], s[30:31]
	v_add_f64 v[144:145], v[144:145], -v[245:246]
	v_add_f64 v[158:159], v[158:159], v[172:173]
	v_add_f64 v[134:135], v[229:230], v[134:135]
	;; [unrolled: 1-line block ×3, first 2 shown]
	v_fma_f64 v[217:218], v[78:79], s[4:5], v[215:216]
	v_add_f64 v[193:194], v[233:234], v[193:194]
	v_mul_f64 v[233:234], v[86:87], s[14:15]
	v_add_f64 v[152:153], v[247:248], v[152:153]
	v_mul_f64 v[56:57], v[88:89], s[14:15]
	v_add_f64 v[182:183], v[182:183], -v[251:252]
	v_mul_f64 v[251:252], v[168:169], s[42:43]
	v_add_f64 v[184:185], v[188:189], v[184:185]
	v_add_f64 v[22:23], v[22:23], v[42:43]
	;; [unrolled: 1-line block ×5, first 2 shown]
	v_mul_f64 v[104:105], v[104:105], s[28:29]
	v_add_f64 v[52:53], v[52:53], v[191:192]
	v_fma_f64 v[191:192], v[88:89], s[4:5], -v[209:210]
	v_add_f64 v[186:187], v[186:187], v[237:238]
	v_fma_f64 v[48:49], v[70:71], s[26:27], -v[160:161]
	v_fma_f64 v[195:196], v[90:91], s[26:27], v[72:73]
	v_fma_f64 v[70:71], v[70:71], s[26:27], v[160:161]
	v_fma_f64 v[72:73], v[90:91], s[26:27], -v[72:73]
	v_add_f64 v[90:91], v[132:133], -v[219:220]
	v_mul_f64 v[132:133], v[164:165], s[18:19]
	v_fma_f64 v[160:161], v[74:75], s[6:7], -v[174:175]
	v_fma_f64 v[164:165], v[94:95], s[6:7], v[50:51]
	v_fma_f64 v[74:75], v[74:75], s[6:7], v[174:175]
	v_fma_f64 v[50:51], v[94:95], s[6:7], -v[50:51]
	v_mul_f64 v[237:238], v[168:169], s[36:37]
	v_fma_f64 v[253:254], v[86:87], s[16:17], v[253:254]
	v_add_f64 v[54:55], v[60:61], v[54:55]
	v_mul_f64 v[60:61], v[88:89], s[6:7]
	v_add_f64 v[22:23], v[22:23], v[34:35]
	v_add_f64 v[20:21], v[20:21], v[32:33]
	;; [unrolled: 1-line block ×3, first 2 shown]
	v_mul_f64 v[188:189], v[168:169], s[8:9]
	v_add_f64 v[100:101], v[146:147], -v[243:244]
	v_add_f64 v[112:113], v[144:145], v[158:159]
	v_add_f64 v[120:121], v[241:242], v[136:137]
	v_add_f64 v[213:214], v[217:218], v[213:214]
	v_add_f64 v[48:49], v[26:27], v[48:49]
	v_add_f64 v[44:45], v[24:25], v[195:196]
	v_add_f64 v[26:27], v[26:27], v[70:71]
	v_add_f64 v[24:25], v[24:25], v[72:73]
	v_add_f64 v[70:71], v[90:91], v[128:129]
	v_mul_f64 v[72:73], v[166:167], s[24:25]
	v_mul_f64 v[90:91], v[102:103], s[24:25]
	v_fma_f64 v[94:95], v[82:83], s[14:15], -v[132:133]
	v_fma_f64 v[102:103], v[84:85], s[14:15], v[108:109]
	v_fma_f64 v[82:83], v[82:83], s[14:15], v[132:133]
	v_mul_f64 v[217:218], v[88:89], s[16:17]
	v_fma_f64 v[58:59], v[78:79], s[26:27], -v[227:228]
	v_fma_f64 v[215:216], v[78:79], s[4:5], -v[215:216]
	v_fma_f64 v[209:210], v[88:89], s[4:5], v[209:210]
	v_add_f64 v[22:23], v[22:23], v[30:31]
	v_add_f64 v[20:21], v[20:21], v[28:29]
	v_add_f64 v[180:181], v[180:181], -v[251:252]
	v_add_f64 v[182:183], v[182:183], v[184:185]
	v_mul_f64 v[225:226], v[170:171], s[40:41]
	v_add_f64 v[191:192], v[191:192], v[207:208]
	v_mul_f64 v[207:208], v[92:93], s[26:27]
	v_add_f64 v[54:55], v[253:254], v[54:55]
	v_add_f64 v[48:49], v[160:161], v[48:49]
	;; [unrolled: 1-line block ×5, first 2 shown]
	v_fma_f64 v[74:75], v[84:85], s[14:15], -v[108:109]
	v_add_f64 v[24:25], v[50:51], v[24:25]
	v_add_f64 v[50:51], v[122:123], -v[239:240]
	v_add_f64 v[38:39], v[38:39], v[70:71]
	v_mul_f64 v[84:85], v[168:169], s[28:29]
	v_fma_f64 v[108:109], v[76:77], s[4:5], -v[72:73]
	v_add_f64 v[70:71], v[235:236], v[114:115]
	v_add_f64 v[98:99], v[233:234], v[154:155]
	v_fma_f64 v[72:73], v[76:77], s[4:5], v[72:73]
	v_fma_f64 v[76:77], v[86:87], s[4:5], -v[90:91]
	v_mul_f64 v[253:254], v[92:93], s[20:21]
	v_mul_f64 v[251:252], v[170:171], s[28:29]
	v_add_f64 v[60:61], v[60:61], v[138:139]
	v_mul_f64 v[184:185], v[92:93], s[6:7]
	v_add_f64 v[42:43], v[217:218], v[156:157]
	v_add_f64 v[58:59], v[58:59], v[186:187]
	v_mul_f64 v[186:187], v[170:171], s[24:25]
	v_mul_f64 v[201:202], v[106:107], s[24:25]
	v_add_f64 v[48:49], v[94:95], v[48:49]
	v_fma_f64 v[94:95], v[86:87], s[4:5], v[90:91]
	v_add_f64 v[32:33], v[102:103], v[40:41]
	v_add_f64 v[36:37], v[134:135], v[44:45]
	;; [unrolled: 1-line block ×7, first 2 shown]
	v_mul_f64 v[56:57], v[170:171], s[22:23]
	v_mul_f64 v[82:83], v[106:107], s[22:23]
	v_fma_f64 v[86:87], v[78:79], s[20:21], -v[84:85]
	v_fma_f64 v[90:91], v[88:89], s[20:21], v[104:105]
	v_add_f64 v[74:75], v[124:125], -v[237:238]
	v_add_f64 v[30:31], v[70:71], v[34:35]
	v_add_f64 v[44:45], v[148:149], -v[188:189]
	v_add_f64 v[46:47], v[100:101], v[112:113]
	v_fma_f64 v[199:200], v[88:89], s[26:27], -v[249:250]
	v_fma_f64 v[249:250], v[88:89], s[26:27], v[249:250]
	v_add_f64 v[52:53], v[215:216], v[52:53]
	v_mul_f64 v[215:216], v[170:171], s[36:37]
	v_add_f64 v[193:194], v[209:210], v[193:194]
	v_add_f64 v[48:49], v[108:109], v[48:49]
	v_mul_f64 v[209:210], v[106:107], s[36:37]
	v_add_f64 v[28:29], v[94:95], v[32:33]
	v_add_f64 v[32:33], v[120:121], v[36:37]
	v_add_f64 v[34:35], v[98:99], v[40:41]
	v_fma_f64 v[227:228], v[78:79], s[26:27], v[227:228]
	v_fma_f64 v[78:79], v[78:79], s[20:21], v[84:85]
	v_add_f64 v[26:27], v[72:73], v[26:27]
	v_fma_f64 v[72:73], v[88:89], s[20:21], -v[104:105]
	v_add_f64 v[24:25], v[76:77], v[24:25]
	v_add_f64 v[88:89], v[22:23], v[18:19]
	;; [unrolled: 1-line block ×3, first 2 shown]
	v_add_f64 v[36:37], v[176:177], -v[225:226]
	v_add_f64 v[40:41], v[180:181], v[182:183]
	v_fma_f64 v[84:85], v[80:81], s[16:17], -v[56:57]
	v_add_f64 v[76:77], v[118:119], -v[231:232]
	v_add_f64 v[38:39], v[74:75], v[38:39]
	v_add_f64 v[74:75], v[207:208], v[110:111]
	;; [unrolled: 1-line block ×3, first 2 shown]
	v_add_f64 v[94:95], v[142:143], -v[251:252]
	v_add_f64 v[44:45], v[44:45], v[46:47]
	v_add_f64 v[46:47], v[253:254], v[126:127]
	;; [unrolled: 1-line block ×3, first 2 shown]
	v_fma_f64 v[86:87], v[92:93], s[16:17], v[82:83]
	v_add_f64 v[28:29], v[90:91], v[28:29]
	v_add_f64 v[32:33], v[60:61], v[32:33]
	;; [unrolled: 1-line block ×4, first 2 shown]
	v_fma_f64 v[96:97], v[80:81], s[4:5], v[186:187]
	v_fma_f64 v[186:187], v[80:81], s[4:5], -v[186:187]
	v_fma_f64 v[223:224], v[92:93], s[4:5], v[201:202]
	v_add_f64 v[54:55], v[249:250], v[54:55]
	v_fma_f64 v[203:204], v[80:81], s[14:15], v[215:216]
	v_fma_f64 v[197:198], v[92:93], s[14:15], -v[209:210]
	v_fma_f64 v[215:216], v[80:81], s[14:15], -v[215:216]
	v_fma_f64 v[209:210], v[92:93], s[14:15], v[209:210]
	v_add_f64 v[90:91], v[227:228], v[205:206]
	v_fma_f64 v[98:99], v[92:93], s[4:5], -v[201:202]
	v_add_f64 v[62:63], v[199:200], v[62:63]
	v_fma_f64 v[56:57], v[80:81], s[16:17], v[56:57]
	v_add_f64 v[78:79], v[78:79], v[26:27]
	v_fma_f64 v[80:81], v[92:93], s[16:17], -v[82:83]
	v_add_f64 v[72:73], v[72:73], v[24:25]
	v_add_f64 v[14:15], v[88:89], v[14:15]
	;; [unrolled: 1-line block ×19, first 2 shown]
	v_mad_u32_u24 v52, 0xc0, v66, v190
	v_add_f64 v[50:51], v[56:57], v[78:79]
	v_add_f64 v[48:49], v[80:81], v[72:73]
	ds_write_b128 v52, v[12:15]
	ds_write_b128 v52, v[40:43] offset:16
	ds_write_b128 v52, v[36:39] offset:32
	;; [unrolled: 1-line block ×12, first 2 shown]
.LBB0_15:
	s_or_b32 exec_lo, exec_lo, s1
	v_and_b32_e32 v12, 0xff, v66
	v_mov_b32_e32 v13, 7
	s_load_dwordx2 s[2:3], s[2:3], 0x0
	s_waitcnt lgkmcnt(0)
	s_barrier
	v_mul_lo_u16 v12, 0x4f, v12
	buffer_gl0_inv
	s_mov_b32 s4, 0x8c811c17
	s_mov_b32 s6, 0xa2cf5039
	;; [unrolled: 1-line block ×3, first 2 shown]
	v_lshrrev_b16 v67, 10, v12
	s_mov_b32 s0, 0x523c161c
	s_mov_b32 s5, 0x3fef838b
	;; [unrolled: 1-line block ×4, first 2 shown]
	v_mul_lo_u16 v12, v67, 13
	s_mov_b32 s9, 0x3fc63a1a
	v_sub_nc_u16 v102, v66, v12
	v_lshlrev_b32_sdwa v40, v13, v102 dst_sel:DWORD dst_unused:UNUSED_PAD src0_sel:DWORD src1_sel:BYTE_0
	s_clause 0x7
	global_load_dwordx4 v[12:15], v40, s[12:13]
	global_load_dwordx4 v[16:19], v40, s[12:13] offset:112
	global_load_dwordx4 v[20:23], v40, s[12:13] offset:48
	;; [unrolled: 1-line block ×7, first 2 shown]
	ds_read_b128 v[44:47], v190 offset:832
	ds_read_b128 v[48:51], v190 offset:6656
	;; [unrolled: 1-line block ×8, first 2 shown]
	s_waitcnt vmcnt(7) lgkmcnt(7)
	v_mul_f64 v[82:83], v[46:47], v[14:15]
	v_mul_f64 v[14:15], v[44:45], v[14:15]
	s_waitcnt vmcnt(6) lgkmcnt(6)
	v_mul_f64 v[84:85], v[50:51], v[18:19]
	v_mul_f64 v[18:19], v[48:49], v[18:19]
	;; [unrolled: 3-line block ×6, first 2 shown]
	v_fma_f64 v[44:45], v[44:45], v[12:13], v[82:83]
	v_fma_f64 v[46:47], v[46:47], v[12:13], -v[14:15]
	ds_read_b128 v[12:15], v190
	v_fma_f64 v[48:49], v[48:49], v[16:17], v[84:85]
	v_fma_f64 v[16:17], v[50:51], v[16:17], -v[18:19]
	v_fma_f64 v[18:19], v[52:53], v[20:21], v[86:87]
	v_fma_f64 v[20:21], v[54:55], v[20:21], -v[22:23]
	;; [unrolled: 2-line block ×5, first 2 shown]
	s_waitcnt vmcnt(1) lgkmcnt(2)
	v_mul_f64 v[34:35], v[76:77], v[38:39]
	v_mul_f64 v[38:39], v[74:75], v[38:39]
	s_waitcnt vmcnt(0) lgkmcnt(1)
	v_mul_f64 v[50:51], v[80:81], v[42:43]
	v_mul_f64 v[42:43], v[78:79], v[42:43]
	s_waitcnt lgkmcnt(0)
	s_barrier
	buffer_gl0_inv
	v_add_f64 v[52:53], v[44:45], -v[48:49]
	v_add_f64 v[54:55], v[46:47], -v[16:17]
	v_add_f64 v[44:45], v[44:45], v[48:49]
	v_add_f64 v[16:17], v[46:47], v[16:17]
	;; [unrolled: 1-line block ×4, first 2 shown]
	v_add_f64 v[56:57], v[18:19], -v[22:23]
	v_add_f64 v[58:59], v[20:21], -v[24:25]
	v_add_f64 v[60:61], v[26:27], v[30:31]
	v_add_f64 v[62:63], v[28:29], v[32:33]
	v_fma_f64 v[34:35], v[74:75], v[36:37], v[34:35]
	v_fma_f64 v[36:37], v[76:77], v[36:37], -v[38:39]
	v_fma_f64 v[38:39], v[78:79], v[40:41], v[50:51]
	v_fma_f64 v[40:41], v[80:81], v[40:41], -v[42:43]
	v_add_f64 v[26:27], v[26:27], -v[30:31]
	v_add_f64 v[28:29], v[28:29], -v[32:33]
	v_mul_f64 v[30:31], v[52:53], s[0:1]
	v_mul_f64 v[32:33], v[54:55], s[0:1]
	v_fma_f64 v[42:43], v[44:45], s[6:7], v[12:13]
	v_fma_f64 v[50:51], v[16:17], s[6:7], v[14:15]
	s_mov_b32 s1, 0xbfe491b7
	v_fma_f64 v[70:71], v[46:47], s[6:7], v[12:13]
	v_fma_f64 v[72:73], v[48:49], s[6:7], v[14:15]
	v_mul_f64 v[74:75], v[56:57], s[4:5]
	v_mul_f64 v[76:77], v[58:59], s[4:5]
	v_fma_f64 v[78:79], v[60:61], s[6:7], v[12:13]
	v_fma_f64 v[80:81], v[62:63], s[6:7], v[14:15]
	v_mul_f64 v[82:83], v[58:59], s[0:1]
	v_mul_f64 v[84:85], v[56:57], s[0:1]
	v_add_f64 v[86:87], v[34:35], v[38:39]
	v_add_f64 v[88:89], v[36:37], v[40:41]
	v_add_f64 v[90:91], v[60:61], v[44:45]
	v_add_f64 v[92:93], v[62:63], v[16:17]
	v_add_f64 v[34:35], v[34:35], -v[38:39]
	v_add_f64 v[36:37], v[36:37], -v[40:41]
	s_mov_b32 s6, 0xe8584cab
	s_mov_b32 s7, 0x3febb67a
	v_fma_f64 v[30:31], v[26:27], s[4:5], v[30:31]
	v_fma_f64 v[32:33], v[28:29], s[4:5], v[32:33]
	;; [unrolled: 1-line block ×6, first 2 shown]
	v_fma_f64 v[70:71], v[26:27], s[0:1], -v[74:75]
	v_fma_f64 v[72:73], v[28:29], s[0:1], -v[76:77]
	v_fma_f64 v[74:75], v[46:47], s[8:9], v[78:79]
	v_fma_f64 v[76:77], v[48:49], s[8:9], v[80:81]
	;; [unrolled: 1-line block ×4, first 2 shown]
	v_add_f64 v[82:83], v[56:57], v[52:53]
	v_add_f64 v[84:85], v[58:59], v[54:55]
	;; [unrolled: 1-line block ×8, first 2 shown]
	s_mov_b32 s1, 0xbfebb67a
	s_mov_b32 s0, s6
	v_fma_f64 v[30:31], v[34:35], s[6:7], v[30:31]
	v_fma_f64 v[32:33], v[36:37], s[6:7], v[32:33]
	v_fma_f64 v[38:39], v[86:87], -0.5, v[38:39]
	v_fma_f64 v[40:41], v[88:89], -0.5, v[40:41]
	;; [unrolled: 1-line block ×4, first 2 shown]
	v_fma_f64 v[70:71], v[34:35], s[6:7], v[70:71]
	v_fma_f64 v[72:73], v[36:37], s[6:7], v[72:73]
	v_fma_f64 v[74:75], v[86:87], -0.5, v[74:75]
	v_fma_f64 v[76:77], v[88:89], -0.5, v[76:77]
	v_fma_f64 v[36:37], v[36:37], s[0:1], v[78:79]
	v_fma_f64 v[34:35], v[34:35], s[0:1], v[80:81]
	v_add_f64 v[78:79], v[82:83], -v[26:27]
	v_add_f64 v[80:81], v[84:85], -v[28:29]
	s_mov_b32 s4, 0x748a0bf8
	v_fma_f64 v[82:83], v[98:99], -0.5, v[94:95]
	s_mov_b32 s8, 0x42522d1b
	v_add_f64 v[18:19], v[18:19], v[90:91]
	v_add_f64 v[20:21], v[20:21], v[92:93]
	s_mov_b32 s5, 0x3fd5e3a8
	s_mov_b32 s9, 0xbfee11f6
	v_fma_f64 v[84:85], v[100:101], -0.5, v[96:97]
	v_fma_f64 v[56:57], v[56:57], s[4:5], v[30:31]
	v_fma_f64 v[58:59], v[58:59], s[4:5], v[32:33]
	;; [unrolled: 1-line block ×12, first 2 shown]
	v_mul_f64 v[34:35], v[78:79], s[6:7]
	v_mul_f64 v[36:37], v[80:81], s[6:7]
	v_fma_f64 v[16:17], v[80:81], s[0:1], v[82:83]
	v_cmp_gt_u32_e64 s0, 13, v66
	v_add_f64 v[54:55], v[22:23], v[18:19]
	v_add_f64 v[60:61], v[24:25], v[20:21]
	v_fma_f64 v[18:19], v[78:79], s[6:7], v[84:85]
	v_add_f64 v[20:21], v[30:31], -v[58:59]
	v_add_f64 v[22:23], v[56:57], v[32:33]
	v_add_f64 v[24:25], v[44:45], -v[46:47]
	v_add_f64 v[26:27], v[42:43], v[48:49]
	;; [unrolled: 2-line block ×3, first 2 shown]
	v_mov_b32_e32 v48, 0x750
	v_mov_b32_e32 v49, 4
	v_fma_f64 v[32:33], v[36:37], 2.0, v[16:17]
	v_add_f64 v[36:37], v[12:13], v[54:55]
	v_add_f64 v[38:39], v[14:15], v[60:61]
	v_mul_u32_u24_sdwa v48, v67, v48 dst_sel:DWORD dst_unused:UNUSED_PAD src0_sel:WORD_0 src1_sel:DWORD
	v_lshlrev_b32_sdwa v49, v49, v102 dst_sel:DWORD dst_unused:UNUSED_PAD src0_sel:DWORD src1_sel:BYTE_0
	v_fma_f64 v[34:35], v[34:35], -2.0, v[18:19]
	v_fma_f64 v[12:13], v[58:59], 2.0, v[20:21]
	v_fma_f64 v[14:15], v[56:57], -2.0, v[22:23]
	v_add3_u32 v48, 0, v48, v49
	v_fma_f64 v[40:41], v[46:47], 2.0, v[24:25]
	v_fma_f64 v[42:43], v[42:43], -2.0, v[26:27]
	v_fma_f64 v[44:45], v[50:51], 2.0, v[28:29]
	v_fma_f64 v[46:47], v[52:53], -2.0, v[30:31]
	ds_write_b128 v48, v[16:19] offset:624
	ds_write_b128 v48, v[36:39]
	ds_write_b128 v48, v[20:23] offset:208
	ds_write_b128 v48, v[24:27] offset:832
	;; [unrolled: 1-line block ×7, first 2 shown]
	s_waitcnt lgkmcnt(0)
	s_barrier
	buffer_gl0_inv
	ds_read_b128 v[16:19], v190
	ds_read_b128 v[20:23], v190 offset:832
	ds_read_b128 v[36:39], v190 offset:1872
	;; [unrolled: 1-line block ×7, first 2 shown]
	s_and_saveexec_b32 s1, s0
	s_cbranch_execz .LBB0_17
; %bb.16:
	ds_read_b128 v[12:15], v190 offset:1664
	ds_read_b128 v[0:3], v190 offset:3536
	ds_read_b128 v[4:7], v190 offset:5408
	ds_read_b128 v[8:11], v190 offset:7280
.LBB0_17:
	s_or_b32 exec_lo, exec_lo, s1
	v_mul_u32_u24_e32 v48, 3, v66
	v_lshlrev_b32_e32 v56, 4, v48
	s_clause 0x1
	global_load_dwordx4 v[48:51], v56, s[12:13] offset:1680
	global_load_dwordx4 v[52:55], v56, s[12:13] offset:1664
	v_add_co_u32 v57, s1, s12, v56
	v_add_co_ci_u32_e64 v58, null, s13, 0, s1
	v_add_co_u32 v60, s1, 0x1000, v57
	v_add_co_ci_u32_e64 v61, s1, 0, v58, s1
	v_add_co_u32 v74, s1, 0x1040, v57
	v_add_co_ci_u32_e64 v75, s1, 0, v58, s1
	s_clause 0x3
	global_load_dwordx4 v[56:59], v56, s[12:13] offset:1696
	global_load_dwordx4 v[60:63], v[60:61], off offset:64
	global_load_dwordx4 v[70:73], v[74:75], off offset:16
	;; [unrolled: 1-line block ×3, first 2 shown]
	s_waitcnt vmcnt(0) lgkmcnt(0)
	s_barrier
	buffer_gl0_inv
	v_mul_f64 v[80:81], v[42:43], v[50:51]
	v_mul_f64 v[78:79], v[38:39], v[54:55]
	;; [unrolled: 1-line block ×12, first 2 shown]
	v_fma_f64 v[40:41], v[40:41], v[48:49], v[80:81]
	v_fma_f64 v[36:37], v[36:37], v[52:53], v[78:79]
	v_fma_f64 v[38:39], v[38:39], v[52:53], -v[54:55]
	v_fma_f64 v[42:43], v[42:43], v[48:49], -v[50:51]
	v_fma_f64 v[44:45], v[44:45], v[56:57], v[82:83]
	v_fma_f64 v[46:47], v[46:47], v[56:57], -v[58:59]
	v_fma_f64 v[24:25], v[24:25], v[60:61], v[84:85]
	;; [unrolled: 2-line block ×4, first 2 shown]
	v_fma_f64 v[34:35], v[34:35], v[74:75], -v[76:77]
	v_add_f64 v[40:41], v[16:17], -v[40:41]
	v_add_f64 v[42:43], v[18:19], -v[42:43]
	;; [unrolled: 1-line block ×8, first 2 shown]
	v_fma_f64 v[16:17], v[16:17], 2.0, -v[40:41]
	v_fma_f64 v[52:53], v[18:19], 2.0, -v[42:43]
	;; [unrolled: 1-line block ×4, first 2 shown]
	v_add_f64 v[18:19], v[40:41], v[46:47]
	v_fma_f64 v[54:55], v[20:21], 2.0, -v[48:49]
	v_fma_f64 v[56:57], v[22:23], 2.0, -v[50:51]
	v_fma_f64 v[36:37], v[24:25], 2.0, -v[28:29]
	v_fma_f64 v[38:39], v[26:27], 2.0, -v[30:31]
	v_add_f64 v[20:21], v[42:43], -v[44:45]
	v_add_f64 v[22:23], v[48:49], v[30:31]
	v_add_f64 v[24:25], v[50:51], -v[28:29]
	v_add_f64 v[26:27], v[16:17], -v[32:33]
	;; [unrolled: 1-line block ×3, first 2 shown]
	v_fma_f64 v[34:35], v[40:41], 2.0, -v[18:19]
	v_add_f64 v[30:31], v[54:55], -v[36:37]
	v_add_f64 v[32:33], v[56:57], -v[38:39]
	v_fma_f64 v[36:37], v[42:43], 2.0, -v[20:21]
	v_fma_f64 v[38:39], v[48:49], 2.0, -v[22:23]
	;; [unrolled: 1-line block ×5, first 2 shown]
	v_mov_b32_e32 v17, 0
	v_fma_f64 v[46:47], v[54:55], 2.0, -v[30:31]
	v_fma_f64 v[48:49], v[56:57], 2.0, -v[32:33]
	ds_write_b128 v190, v[18:21] offset:5616
	ds_write_b128 v190, v[34:37] offset:1872
	;; [unrolled: 1-line block ×5, first 2 shown]
	ds_write_b128 v190, v[42:45]
	ds_write_b128 v190, v[46:49] offset:832
	ds_write_b128 v190, v[22:25] offset:6448
	s_and_saveexec_b32 s1, s0
	s_cbranch_execz .LBB0_19
; %bb.18:
	v_add_nc_u32_e32 v16, 0x68, v66
	v_add_nc_u32_e32 v18, -13, v66
	v_cndmask_b32_e64 v16, v18, v16, s0
	v_mul_i32_i24_e32 v16, 3, v16
	v_lshlrev_b64 v[16:17], 4, v[16:17]
	v_add_co_u32 v24, s0, s12, v16
	v_add_co_ci_u32_e64 v25, s0, s13, v17, s0
	s_clause 0x2
	global_load_dwordx4 v[16:19], v[24:25], off offset:1680
	global_load_dwordx4 v[20:23], v[24:25], off offset:1664
	;; [unrolled: 1-line block ×3, first 2 shown]
	s_waitcnt vmcnt(2)
	v_mul_f64 v[28:29], v[4:5], v[18:19]
	s_waitcnt vmcnt(1)
	v_mul_f64 v[30:31], v[2:3], v[22:23]
	v_mul_f64 v[22:23], v[0:1], v[22:23]
	s_waitcnt vmcnt(0)
	v_mul_f64 v[32:33], v[8:9], v[26:27]
	v_mul_f64 v[18:19], v[6:7], v[18:19]
	;; [unrolled: 1-line block ×3, first 2 shown]
	v_fma_f64 v[6:7], v[6:7], v[16:17], -v[28:29]
	v_fma_f64 v[0:1], v[0:1], v[20:21], v[30:31]
	v_fma_f64 v[2:3], v[2:3], v[20:21], -v[22:23]
	v_fma_f64 v[10:11], v[10:11], v[24:25], -v[32:33]
	v_fma_f64 v[4:5], v[4:5], v[16:17], v[18:19]
	v_fma_f64 v[8:9], v[8:9], v[24:25], v[26:27]
	v_add_f64 v[16:17], v[14:15], -v[6:7]
	v_add_f64 v[6:7], v[2:3], -v[10:11]
	v_add_f64 v[18:19], v[12:13], -v[4:5]
	v_add_f64 v[4:5], v[0:1], -v[8:9]
	v_fma_f64 v[14:15], v[14:15], 2.0, -v[16:17]
	v_fma_f64 v[8:9], v[2:3], 2.0, -v[6:7]
	;; [unrolled: 1-line block ×4, first 2 shown]
	v_add_f64 v[2:3], v[16:17], -v[4:5]
	v_add_f64 v[0:1], v[18:19], v[6:7]
	v_add_f64 v[6:7], v[14:15], -v[8:9]
	v_add_f64 v[4:5], v[12:13], -v[10:11]
	v_fma_f64 v[10:11], v[16:17], 2.0, -v[2:3]
	v_fma_f64 v[8:9], v[18:19], 2.0, -v[0:1]
	;; [unrolled: 1-line block ×4, first 2 shown]
	ds_write_b128 v190, v[8:11] offset:3536
	ds_write_b128 v190, v[4:7] offset:5408
	ds_write_b128 v190, v[12:15] offset:1664
	ds_write_b128 v190, v[0:3] offset:7280
.LBB0_19:
	s_or_b32 exec_lo, exec_lo, s1
	s_waitcnt lgkmcnt(0)
	s_barrier
	buffer_gl0_inv
	ds_read_b128 v[4:7], v190
	v_lshlrev_b32_e32 v0, 4, v66
	s_add_u32 s1, s12, 0x1c70
	s_addc_u32 s4, s13, 0
	s_mov_b32 s5, exec_lo
                                        ; implicit-def: $vgpr2_vgpr3
                                        ; implicit-def: $vgpr8_vgpr9
                                        ; implicit-def: $vgpr10_vgpr11
	v_sub_nc_u32_e32 v12, 0, v0
	v_cmpx_ne_u32_e32 0, v66
	s_xor_b32 s5, exec_lo, s5
	s_cbranch_execz .LBB0_21
; %bb.20:
	v_mov_b32_e32 v67, 0
	v_lshlrev_b64 v[0:1], 4, v[66:67]
	v_add_co_u32 v0, s0, s1, v0
	v_add_co_ci_u32_e64 v1, s0, s4, v1, s0
	global_load_dwordx4 v[13:16], v[0:1], off
	ds_read_b128 v[0:3], v12 offset:7488
	s_waitcnt lgkmcnt(0)
	v_add_f64 v[8:9], v[4:5], -v[0:1]
	v_add_f64 v[10:11], v[6:7], v[2:3]
	v_add_f64 v[2:3], v[6:7], -v[2:3]
	v_add_f64 v[0:1], v[4:5], v[0:1]
	v_mul_f64 v[6:7], v[8:9], 0.5
	v_mul_f64 v[4:5], v[10:11], 0.5
	;; [unrolled: 1-line block ×3, first 2 shown]
	s_waitcnt vmcnt(0)
	v_mul_f64 v[8:9], v[6:7], v[15:16]
	v_fma_f64 v[10:11], v[4:5], v[15:16], v[2:3]
	v_fma_f64 v[2:3], v[4:5], v[15:16], -v[2:3]
	v_fma_f64 v[17:18], v[0:1], 0.5, v[8:9]
	v_fma_f64 v[0:1], v[0:1], 0.5, -v[8:9]
	v_fma_f64 v[8:9], -v[13:14], v[6:7], v[10:11]
	v_mov_b32_e32 v10, v66
	v_fma_f64 v[2:3], -v[13:14], v[6:7], v[2:3]
	v_mov_b32_e32 v11, v67
	v_fma_f64 v[15:16], v[4:5], v[13:14], v[17:18]
	v_fma_f64 v[0:1], -v[4:5], v[13:14], v[0:1]
                                        ; implicit-def: $vgpr4_vgpr5
	ds_write_b64 v190, v[15:16]
.LBB0_21:
	s_andn2_saveexec_b32 s0, s5
	s_cbranch_execz .LBB0_23
; %bb.22:
	v_mov_b32_e32 v17, 0
	s_waitcnt lgkmcnt(0)
	v_add_f64 v[15:16], v[4:5], v[6:7]
	v_add_f64 v[0:1], v[4:5], -v[6:7]
	v_mov_b32_e32 v8, 0
	v_mov_b32_e32 v9, 0
	ds_read_b64 v[13:14], v17 offset:3752
	v_mov_b32_e32 v10, 0
	v_mov_b32_e32 v2, v8
	;; [unrolled: 1-line block ×4, first 2 shown]
	s_waitcnt lgkmcnt(0)
	v_xor_b32_e32 v14, 0x80000000, v14
	ds_write_b64 v190, v[15:16]
	ds_write_b64 v17, v[13:14] offset:3752
.LBB0_23:
	s_or_b32 exec_lo, exec_lo, s0
	s_waitcnt lgkmcnt(0)
	v_lshlrev_b64 v[4:5], 4, v[10:11]
	v_add_co_u32 v21, s0, s1, v4
	v_add_co_ci_u32_e64 v22, s0, s4, v5, s0
	s_mov_b32 s1, exec_lo
	s_clause 0x1
	global_load_dwordx4 v[4:7], v[21:22], off offset:832
	global_load_dwordx4 v[13:16], v[21:22], off offset:1664
	ds_write_b64 v190, v[8:9] offset:8
	ds_write_b128 v12, v[0:3] offset:7488
	v_add_co_u32 v0, s0, 0x800, v21
	ds_read_b128 v[8:11], v190 offset:832
	ds_read_b128 v[17:20], v12 offset:6656
	v_add_co_ci_u32_e64 v1, s0, 0, v22, s0
	global_load_dwordx4 v[21:24], v[0:1], off offset:448
	s_waitcnt lgkmcnt(0)
	v_add_f64 v[2:3], v[8:9], -v[17:18]
	v_add_f64 v[25:26], v[10:11], v[19:20]
	v_add_f64 v[10:11], v[10:11], -v[19:20]
	v_add_f64 v[8:9], v[8:9], v[17:18]
	v_mul_f64 v[2:3], v[2:3], 0.5
	v_mul_f64 v[25:26], v[25:26], 0.5
	;; [unrolled: 1-line block ×3, first 2 shown]
	s_waitcnt vmcnt(2)
	v_mul_f64 v[17:18], v[2:3], v[6:7]
	v_fma_f64 v[19:20], v[25:26], v[6:7], v[10:11]
	v_fma_f64 v[6:7], v[25:26], v[6:7], -v[10:11]
	v_fma_f64 v[10:11], v[8:9], 0.5, v[17:18]
	v_fma_f64 v[17:18], v[8:9], 0.5, -v[17:18]
	v_fma_f64 v[8:9], -v[4:5], v[2:3], v[19:20]
	v_fma_f64 v[19:20], -v[4:5], v[2:3], v[6:7]
	v_fma_f64 v[6:7], v[25:26], v[4:5], v[10:11]
	v_fma_f64 v[17:18], -v[25:26], v[4:5], v[17:18]
	ds_write_b128 v190, v[6:9] offset:832
	ds_write_b128 v12, v[17:20] offset:6656
	ds_read_b128 v[2:5], v190 offset:1664
	ds_read_b128 v[6:9], v12 offset:5824
	s_waitcnt lgkmcnt(0)
	v_add_f64 v[10:11], v[2:3], -v[6:7]
	v_add_f64 v[17:18], v[4:5], v[8:9]
	v_add_f64 v[4:5], v[4:5], -v[8:9]
	v_add_f64 v[2:3], v[2:3], v[6:7]
	v_mul_f64 v[8:9], v[10:11], 0.5
	v_mul_f64 v[10:11], v[17:18], 0.5
	;; [unrolled: 1-line block ×3, first 2 shown]
	s_waitcnt vmcnt(1)
	v_mul_f64 v[6:7], v[8:9], v[15:16]
	v_fma_f64 v[17:18], v[10:11], v[15:16], v[4:5]
	v_fma_f64 v[15:16], v[10:11], v[15:16], -v[4:5]
	v_fma_f64 v[19:20], v[2:3], 0.5, v[6:7]
	v_fma_f64 v[6:7], v[2:3], 0.5, -v[6:7]
	v_fma_f64 v[4:5], -v[13:14], v[8:9], v[17:18]
	v_fma_f64 v[8:9], -v[13:14], v[8:9], v[15:16]
	v_fma_f64 v[2:3], v[10:11], v[13:14], v[19:20]
	v_fma_f64 v[6:7], -v[10:11], v[13:14], v[6:7]
	ds_write_b128 v190, v[2:5] offset:1664
	ds_write_b128 v12, v[6:9] offset:5824
	ds_read_b128 v[2:5], v190 offset:2496
	ds_read_b128 v[6:9], v12 offset:4992
	s_waitcnt lgkmcnt(0)
	v_add_f64 v[10:11], v[2:3], -v[6:7]
	v_add_f64 v[13:14], v[4:5], v[8:9]
	v_add_f64 v[4:5], v[4:5], -v[8:9]
	v_add_f64 v[2:3], v[2:3], v[6:7]
	v_mul_f64 v[8:9], v[10:11], 0.5
	v_mul_f64 v[10:11], v[13:14], 0.5
	;; [unrolled: 1-line block ×3, first 2 shown]
	s_waitcnt vmcnt(0)
	v_mul_f64 v[6:7], v[8:9], v[23:24]
	v_fma_f64 v[13:14], v[10:11], v[23:24], v[4:5]
	v_fma_f64 v[15:16], v[10:11], v[23:24], -v[4:5]
	v_fma_f64 v[17:18], v[2:3], 0.5, v[6:7]
	v_fma_f64 v[6:7], v[2:3], 0.5, -v[6:7]
	v_fma_f64 v[4:5], -v[21:22], v[8:9], v[13:14]
	v_fma_f64 v[8:9], -v[21:22], v[8:9], v[15:16]
	v_fma_f64 v[2:3], v[10:11], v[21:22], v[17:18]
	v_fma_f64 v[6:7], -v[10:11], v[21:22], v[6:7]
	ds_write_b128 v190, v[2:5] offset:2496
	ds_write_b128 v12, v[6:9] offset:4992
	v_cmpx_gt_u32_e32 26, v66
	s_cbranch_execz .LBB0_25
; %bb.24:
	global_load_dwordx4 v[0:3], v[0:1], off offset:1280
	ds_read_b128 v[4:7], v190 offset:3328
	ds_read_b128 v[8:11], v12 offset:4160
	s_waitcnt lgkmcnt(0)
	v_add_f64 v[13:14], v[4:5], -v[8:9]
	v_add_f64 v[15:16], v[6:7], v[10:11]
	v_add_f64 v[6:7], v[6:7], -v[10:11]
	v_add_f64 v[4:5], v[4:5], v[8:9]
	v_mul_f64 v[10:11], v[13:14], 0.5
	v_mul_f64 v[13:14], v[15:16], 0.5
	;; [unrolled: 1-line block ×3, first 2 shown]
	s_waitcnt vmcnt(0)
	v_mul_f64 v[8:9], v[10:11], v[2:3]
	v_fma_f64 v[15:16], v[13:14], v[2:3], v[6:7]
	v_fma_f64 v[2:3], v[13:14], v[2:3], -v[6:7]
	v_fma_f64 v[6:7], v[4:5], 0.5, v[8:9]
	v_fma_f64 v[17:18], v[4:5], 0.5, -v[8:9]
	v_fma_f64 v[4:5], -v[0:1], v[10:11], v[15:16]
	v_fma_f64 v[8:9], -v[0:1], v[10:11], v[2:3]
	v_fma_f64 v[2:3], v[13:14], v[0:1], v[6:7]
	v_fma_f64 v[6:7], -v[13:14], v[0:1], v[17:18]
	ds_write_b128 v190, v[2:5] offset:3328
	ds_write_b128 v12, v[6:9] offset:4160
.LBB0_25:
	s_or_b32 exec_lo, exec_lo, s1
	s_waitcnt lgkmcnt(0)
	s_barrier
	buffer_gl0_inv
	s_and_saveexec_b32 s0, vcc_lo
	s_cbranch_execz .LBB0_28
; %bb.26:
	v_mul_lo_u32 v2, s3, v68
	v_mul_lo_u32 v3, s2, v69
	v_mad_u64_u32 v[0:1], null, s2, v68, 0
	v_lshl_add_u32 v24, v66, 4, 0
	v_mov_b32_e32 v67, 0
	v_lshlrev_b64 v[10:11], 4, v[64:65]
	v_add_nc_u32_e32 v12, 52, v66
	v_add_nc_u32_e32 v14, 0x68, v66
	;; [unrolled: 1-line block ×3, first 2 shown]
	v_add3_u32 v1, v1, v3, v2
	ds_read_b128 v[2:5], v24
	ds_read_b128 v[6:9], v24 offset:832
	v_mov_b32_e32 v13, v67
	v_lshlrev_b64 v[15:16], 4, v[66:67]
	v_mov_b32_e32 v17, v67
	v_lshlrev_b64 v[0:1], 4, v[0:1]
	v_mov_b32_e32 v19, v67
	v_add_nc_u32_e32 v20, 0x104, v66
	v_mov_b32_e32 v21, v67
	v_mov_b32_e32 v25, v67
	v_add_co_u32 v0, vcc_lo, s10, v0
	v_add_co_ci_u32_e32 v1, vcc_lo, s11, v1, vcc_lo
	v_lshlrev_b64 v[18:19], 4, v[18:19]
	v_add_co_u32 v0, vcc_lo, v0, v10
	v_add_co_ci_u32_e32 v1, vcc_lo, v1, v11, vcc_lo
	v_lshlrev_b64 v[10:11], 4, v[12:13]
	v_add_co_u32 v12, vcc_lo, v0, v15
	v_add_co_ci_u32_e32 v13, vcc_lo, v1, v16, vcc_lo
	v_mov_b32_e32 v15, v67
	v_add_co_u32 v10, vcc_lo, v0, v10
	v_add_co_ci_u32_e32 v11, vcc_lo, v1, v11, vcc_lo
	s_waitcnt lgkmcnt(1)
	global_store_dwordx4 v[12:13], v[2:5], off
	v_add_nc_u32_e32 v16, 0x9c, v66
	v_lshlrev_b64 v[14:15], 4, v[14:15]
	s_waitcnt lgkmcnt(0)
	global_store_dwordx4 v[10:11], v[6:9], off
	ds_read_b128 v[2:5], v24 offset:1664
	ds_read_b128 v[6:9], v24 offset:2496
	;; [unrolled: 1-line block ×3, first 2 shown]
	v_lshlrev_b64 v[16:17], 4, v[16:17]
	v_add_co_u32 v14, vcc_lo, v0, v14
	v_add_co_ci_u32_e32 v15, vcc_lo, v1, v15, vcc_lo
	v_add_co_u32 v16, vcc_lo, v0, v16
	v_add_co_ci_u32_e32 v17, vcc_lo, v1, v17, vcc_lo
	;; [unrolled: 2-line block ×3, first 2 shown]
	s_waitcnt lgkmcnt(2)
	global_store_dwordx4 v[14:15], v[2:5], off
	s_waitcnt lgkmcnt(1)
	global_store_dwordx4 v[16:17], v[6:9], off
	v_lshlrev_b64 v[6:7], 4, v[20:21]
	v_add_nc_u32_e32 v8, 0x138, v66
	v_mov_b32_e32 v9, v67
	v_add_nc_u32_e32 v14, 0x16c, v66
	v_mov_b32_e32 v15, v67
	s_waitcnt lgkmcnt(0)
	global_store_dwordx4 v[18:19], v[10:13], off
	v_add_co_u32 v18, vcc_lo, v0, v6
	ds_read_b128 v[2:5], v24 offset:4160
	v_add_co_ci_u32_e32 v19, vcc_lo, v1, v7, vcc_lo
	v_lshlrev_b64 v[20:21], 4, v[8:9]
	ds_read_b128 v[6:9], v24 offset:4992
	ds_read_b128 v[10:13], v24 offset:5824
	v_lshlrev_b64 v[22:23], 4, v[14:15]
	ds_read_b128 v[14:17], v24 offset:6656
	v_add_nc_u32_e32 v24, 0x1a0, v66
	v_add_co_u32 v20, vcc_lo, v0, v20
	v_add_co_ci_u32_e32 v21, vcc_lo, v1, v21, vcc_lo
	v_lshlrev_b64 v[24:25], 4, v[24:25]
	v_add_co_u32 v22, vcc_lo, v0, v22
	v_add_co_ci_u32_e32 v23, vcc_lo, v1, v23, vcc_lo
	v_add_co_u32 v24, vcc_lo, v0, v24
	v_add_co_ci_u32_e32 v25, vcc_lo, v1, v25, vcc_lo
	v_cmp_eq_u32_e32 vcc_lo, 51, v66
	s_waitcnt lgkmcnt(3)
	global_store_dwordx4 v[18:19], v[2:5], off
	s_waitcnt lgkmcnt(2)
	global_store_dwordx4 v[20:21], v[6:9], off
	;; [unrolled: 2-line block ×4, first 2 shown]
	s_and_b32 exec_lo, exec_lo, vcc_lo
	s_cbranch_execz .LBB0_28
; %bb.27:
	ds_read_b128 v[2:5], v67 offset:7488
	v_add_co_u32 v0, vcc_lo, 0x1800, v0
	v_add_co_ci_u32_e32 v1, vcc_lo, 0, v1, vcc_lo
	s_waitcnt lgkmcnt(0)
	global_store_dwordx4 v[0:1], v[2:5], off offset:1344
.LBB0_28:
	s_endpgm
	.section	.rodata,"a",@progbits
	.p2align	6, 0x0
	.amdhsa_kernel fft_rtc_back_len468_factors_13_9_4_wgs_52_tpt_52_dp_op_CI_CI_unitstride_sbrr_R2C_dirReg
		.amdhsa_group_segment_fixed_size 0
		.amdhsa_private_segment_fixed_size 0
		.amdhsa_kernarg_size 104
		.amdhsa_user_sgpr_count 6
		.amdhsa_user_sgpr_private_segment_buffer 1
		.amdhsa_user_sgpr_dispatch_ptr 0
		.amdhsa_user_sgpr_queue_ptr 0
		.amdhsa_user_sgpr_kernarg_segment_ptr 1
		.amdhsa_user_sgpr_dispatch_id 0
		.amdhsa_user_sgpr_flat_scratch_init 0
		.amdhsa_user_sgpr_private_segment_size 0
		.amdhsa_wavefront_size32 1
		.amdhsa_uses_dynamic_stack 0
		.amdhsa_system_sgpr_private_segment_wavefront_offset 0
		.amdhsa_system_sgpr_workgroup_id_x 1
		.amdhsa_system_sgpr_workgroup_id_y 0
		.amdhsa_system_sgpr_workgroup_id_z 0
		.amdhsa_system_sgpr_workgroup_info 0
		.amdhsa_system_vgpr_workitem_id 0
		.amdhsa_next_free_vgpr 255
		.amdhsa_next_free_sgpr 44
		.amdhsa_reserve_vcc 1
		.amdhsa_reserve_flat_scratch 0
		.amdhsa_float_round_mode_32 0
		.amdhsa_float_round_mode_16_64 0
		.amdhsa_float_denorm_mode_32 3
		.amdhsa_float_denorm_mode_16_64 3
		.amdhsa_dx10_clamp 1
		.amdhsa_ieee_mode 1
		.amdhsa_fp16_overflow 0
		.amdhsa_workgroup_processor_mode 1
		.amdhsa_memory_ordered 1
		.amdhsa_forward_progress 0
		.amdhsa_shared_vgpr_count 0
		.amdhsa_exception_fp_ieee_invalid_op 0
		.amdhsa_exception_fp_denorm_src 0
		.amdhsa_exception_fp_ieee_div_zero 0
		.amdhsa_exception_fp_ieee_overflow 0
		.amdhsa_exception_fp_ieee_underflow 0
		.amdhsa_exception_fp_ieee_inexact 0
		.amdhsa_exception_int_div_zero 0
	.end_amdhsa_kernel
	.text
.Lfunc_end0:
	.size	fft_rtc_back_len468_factors_13_9_4_wgs_52_tpt_52_dp_op_CI_CI_unitstride_sbrr_R2C_dirReg, .Lfunc_end0-fft_rtc_back_len468_factors_13_9_4_wgs_52_tpt_52_dp_op_CI_CI_unitstride_sbrr_R2C_dirReg
                                        ; -- End function
	.section	.AMDGPU.csdata,"",@progbits
; Kernel info:
; codeLenInByte = 10148
; NumSgprs: 46
; NumVgprs: 255
; ScratchSize: 0
; MemoryBound: 0
; FloatMode: 240
; IeeeMode: 1
; LDSByteSize: 0 bytes/workgroup (compile time only)
; SGPRBlocks: 5
; VGPRBlocks: 31
; NumSGPRsForWavesPerEU: 46
; NumVGPRsForWavesPerEU: 255
; Occupancy: 4
; WaveLimiterHint : 1
; COMPUTE_PGM_RSRC2:SCRATCH_EN: 0
; COMPUTE_PGM_RSRC2:USER_SGPR: 6
; COMPUTE_PGM_RSRC2:TRAP_HANDLER: 0
; COMPUTE_PGM_RSRC2:TGID_X_EN: 1
; COMPUTE_PGM_RSRC2:TGID_Y_EN: 0
; COMPUTE_PGM_RSRC2:TGID_Z_EN: 0
; COMPUTE_PGM_RSRC2:TIDIG_COMP_CNT: 0
	.text
	.p2alignl 6, 3214868480
	.fill 48, 4, 3214868480
	.type	__hip_cuid_d2dac346fafebeac,@object ; @__hip_cuid_d2dac346fafebeac
	.section	.bss,"aw",@nobits
	.globl	__hip_cuid_d2dac346fafebeac
__hip_cuid_d2dac346fafebeac:
	.byte	0                               ; 0x0
	.size	__hip_cuid_d2dac346fafebeac, 1

	.ident	"AMD clang version 19.0.0git (https://github.com/RadeonOpenCompute/llvm-project roc-6.4.0 25133 c7fe45cf4b819c5991fe208aaa96edf142730f1d)"
	.section	".note.GNU-stack","",@progbits
	.addrsig
	.addrsig_sym __hip_cuid_d2dac346fafebeac
	.amdgpu_metadata
---
amdhsa.kernels:
  - .args:
      - .actual_access:  read_only
        .address_space:  global
        .offset:         0
        .size:           8
        .value_kind:     global_buffer
      - .offset:         8
        .size:           8
        .value_kind:     by_value
      - .actual_access:  read_only
        .address_space:  global
        .offset:         16
        .size:           8
        .value_kind:     global_buffer
      - .actual_access:  read_only
        .address_space:  global
        .offset:         24
        .size:           8
        .value_kind:     global_buffer
      - .actual_access:  read_only
        .address_space:  global
        .offset:         32
        .size:           8
        .value_kind:     global_buffer
      - .offset:         40
        .size:           8
        .value_kind:     by_value
      - .actual_access:  read_only
        .address_space:  global
        .offset:         48
        .size:           8
        .value_kind:     global_buffer
      - .actual_access:  read_only
        .address_space:  global
        .offset:         56
        .size:           8
        .value_kind:     global_buffer
      - .offset:         64
        .size:           4
        .value_kind:     by_value
      - .actual_access:  read_only
        .address_space:  global
        .offset:         72
        .size:           8
        .value_kind:     global_buffer
      - .actual_access:  read_only
        .address_space:  global
        .offset:         80
        .size:           8
        .value_kind:     global_buffer
      - .actual_access:  read_only
        .address_space:  global
        .offset:         88
        .size:           8
        .value_kind:     global_buffer
      - .actual_access:  write_only
        .address_space:  global
        .offset:         96
        .size:           8
        .value_kind:     global_buffer
    .group_segment_fixed_size: 0
    .kernarg_segment_align: 8
    .kernarg_segment_size: 104
    .language:       OpenCL C
    .language_version:
      - 2
      - 0
    .max_flat_workgroup_size: 52
    .name:           fft_rtc_back_len468_factors_13_9_4_wgs_52_tpt_52_dp_op_CI_CI_unitstride_sbrr_R2C_dirReg
    .private_segment_fixed_size: 0
    .sgpr_count:     46
    .sgpr_spill_count: 0
    .symbol:         fft_rtc_back_len468_factors_13_9_4_wgs_52_tpt_52_dp_op_CI_CI_unitstride_sbrr_R2C_dirReg.kd
    .uniform_work_group_size: 1
    .uses_dynamic_stack: false
    .vgpr_count:     255
    .vgpr_spill_count: 0
    .wavefront_size: 32
    .workgroup_processor_mode: 1
amdhsa.target:   amdgcn-amd-amdhsa--gfx1030
amdhsa.version:
  - 1
  - 2
...

	.end_amdgpu_metadata
